;; amdgpu-corpus repo=ROCm/rocFFT kind=compiled arch=gfx1030 opt=O3
	.text
	.amdgcn_target "amdgcn-amd-amdhsa--gfx1030"
	.amdhsa_code_object_version 6
	.protected	fft_rtc_fwd_len896_factors_2_2_2_2_2_2_2_7_wgs_112_tpt_112_dp_ip_CI_unitstride_sbrr_C2R_dirReg ; -- Begin function fft_rtc_fwd_len896_factors_2_2_2_2_2_2_2_7_wgs_112_tpt_112_dp_ip_CI_unitstride_sbrr_C2R_dirReg
	.globl	fft_rtc_fwd_len896_factors_2_2_2_2_2_2_2_7_wgs_112_tpt_112_dp_ip_CI_unitstride_sbrr_C2R_dirReg
	.p2align	8
	.type	fft_rtc_fwd_len896_factors_2_2_2_2_2_2_2_7_wgs_112_tpt_112_dp_ip_CI_unitstride_sbrr_C2R_dirReg,@function
fft_rtc_fwd_len896_factors_2_2_2_2_2_2_2_7_wgs_112_tpt_112_dp_ip_CI_unitstride_sbrr_C2R_dirReg: ; @fft_rtc_fwd_len896_factors_2_2_2_2_2_2_2_7_wgs_112_tpt_112_dp_ip_CI_unitstride_sbrr_C2R_dirReg
; %bb.0:
	s_clause 0x2
	s_load_dwordx4 s[8:11], s[4:5], 0x0
	s_load_dwordx2 s[2:3], s[4:5], 0x50
	s_load_dwordx2 s[12:13], s[4:5], 0x18
	v_mul_u32_u24_e32 v1, 0x24a, v0
	v_mov_b32_e32 v3, 0
	v_add_nc_u32_sdwa v5, s6, v1 dst_sel:DWORD dst_unused:UNUSED_PAD src0_sel:DWORD src1_sel:WORD_1
	v_mov_b32_e32 v1, 0
	v_mov_b32_e32 v6, v3
	v_mov_b32_e32 v2, 0
	s_waitcnt lgkmcnt(0)
	v_cmp_lt_u64_e64 s0, s[10:11], 2
	s_and_b32 vcc_lo, exec_lo, s0
	s_cbranch_vccnz .LBB0_8
; %bb.1:
	s_load_dwordx2 s[0:1], s[4:5], 0x10
	v_mov_b32_e32 v1, 0
	s_add_u32 s6, s12, 8
	v_mov_b32_e32 v2, 0
	s_addc_u32 s7, s13, 0
	s_mov_b64 s[16:17], 1
	s_waitcnt lgkmcnt(0)
	s_add_u32 s14, s0, 8
	s_addc_u32 s15, s1, 0
.LBB0_2:                                ; =>This Inner Loop Header: Depth=1
	s_load_dwordx2 s[18:19], s[14:15], 0x0
                                        ; implicit-def: $vgpr7_vgpr8
	s_mov_b32 s0, exec_lo
	s_waitcnt lgkmcnt(0)
	v_or_b32_e32 v4, s19, v6
	v_cmpx_ne_u64_e32 0, v[3:4]
	s_xor_b32 s1, exec_lo, s0
	s_cbranch_execz .LBB0_4
; %bb.3:                                ;   in Loop: Header=BB0_2 Depth=1
	v_cvt_f32_u32_e32 v4, s18
	v_cvt_f32_u32_e32 v7, s19
	s_sub_u32 s0, 0, s18
	s_subb_u32 s20, 0, s19
	v_fmac_f32_e32 v4, 0x4f800000, v7
	v_rcp_f32_e32 v4, v4
	v_mul_f32_e32 v4, 0x5f7ffffc, v4
	v_mul_f32_e32 v7, 0x2f800000, v4
	v_trunc_f32_e32 v7, v7
	v_fmac_f32_e32 v4, 0xcf800000, v7
	v_cvt_u32_f32_e32 v7, v7
	v_cvt_u32_f32_e32 v4, v4
	v_mul_lo_u32 v8, s0, v7
	v_mul_hi_u32 v9, s0, v4
	v_mul_lo_u32 v10, s20, v4
	v_add_nc_u32_e32 v8, v9, v8
	v_mul_lo_u32 v9, s0, v4
	v_add_nc_u32_e32 v8, v8, v10
	v_mul_hi_u32 v10, v4, v9
	v_mul_lo_u32 v11, v4, v8
	v_mul_hi_u32 v12, v4, v8
	v_mul_hi_u32 v13, v7, v9
	v_mul_lo_u32 v9, v7, v9
	v_mul_hi_u32 v14, v7, v8
	v_mul_lo_u32 v8, v7, v8
	v_add_co_u32 v10, vcc_lo, v10, v11
	v_add_co_ci_u32_e32 v11, vcc_lo, 0, v12, vcc_lo
	v_add_co_u32 v9, vcc_lo, v10, v9
	v_add_co_ci_u32_e32 v9, vcc_lo, v11, v13, vcc_lo
	v_add_co_ci_u32_e32 v10, vcc_lo, 0, v14, vcc_lo
	v_add_co_u32 v8, vcc_lo, v9, v8
	v_add_co_ci_u32_e32 v9, vcc_lo, 0, v10, vcc_lo
	v_add_co_u32 v4, vcc_lo, v4, v8
	v_add_co_ci_u32_e32 v7, vcc_lo, v7, v9, vcc_lo
	v_mul_hi_u32 v8, s0, v4
	v_mul_lo_u32 v10, s20, v4
	v_mul_lo_u32 v9, s0, v7
	v_add_nc_u32_e32 v8, v8, v9
	v_mul_lo_u32 v9, s0, v4
	v_add_nc_u32_e32 v8, v8, v10
	v_mul_hi_u32 v10, v4, v9
	v_mul_lo_u32 v11, v4, v8
	v_mul_hi_u32 v12, v4, v8
	v_mul_hi_u32 v13, v7, v9
	v_mul_lo_u32 v9, v7, v9
	v_mul_hi_u32 v14, v7, v8
	v_mul_lo_u32 v8, v7, v8
	v_add_co_u32 v10, vcc_lo, v10, v11
	v_add_co_ci_u32_e32 v11, vcc_lo, 0, v12, vcc_lo
	v_add_co_u32 v9, vcc_lo, v10, v9
	v_add_co_ci_u32_e32 v9, vcc_lo, v11, v13, vcc_lo
	v_add_co_ci_u32_e32 v10, vcc_lo, 0, v14, vcc_lo
	v_add_co_u32 v8, vcc_lo, v9, v8
	v_add_co_ci_u32_e32 v9, vcc_lo, 0, v10, vcc_lo
	v_add_co_u32 v4, vcc_lo, v4, v8
	v_add_co_ci_u32_e32 v11, vcc_lo, v7, v9, vcc_lo
	v_mul_hi_u32 v13, v5, v4
	v_mad_u64_u32 v[9:10], null, v6, v4, 0
	v_mad_u64_u32 v[7:8], null, v5, v11, 0
	;; [unrolled: 1-line block ×3, first 2 shown]
	v_add_co_u32 v4, vcc_lo, v13, v7
	v_add_co_ci_u32_e32 v7, vcc_lo, 0, v8, vcc_lo
	v_add_co_u32 v4, vcc_lo, v4, v9
	v_add_co_ci_u32_e32 v4, vcc_lo, v7, v10, vcc_lo
	v_add_co_ci_u32_e32 v7, vcc_lo, 0, v12, vcc_lo
	v_add_co_u32 v4, vcc_lo, v4, v11
	v_add_co_ci_u32_e32 v9, vcc_lo, 0, v7, vcc_lo
	v_mul_lo_u32 v10, s19, v4
	v_mad_u64_u32 v[7:8], null, s18, v4, 0
	v_mul_lo_u32 v11, s18, v9
	v_sub_co_u32 v7, vcc_lo, v5, v7
	v_add3_u32 v8, v8, v11, v10
	v_sub_nc_u32_e32 v10, v6, v8
	v_subrev_co_ci_u32_e64 v10, s0, s19, v10, vcc_lo
	v_add_co_u32 v11, s0, v4, 2
	v_add_co_ci_u32_e64 v12, s0, 0, v9, s0
	v_sub_co_u32 v13, s0, v7, s18
	v_sub_co_ci_u32_e32 v8, vcc_lo, v6, v8, vcc_lo
	v_subrev_co_ci_u32_e64 v10, s0, 0, v10, s0
	v_cmp_le_u32_e32 vcc_lo, s18, v13
	v_cmp_eq_u32_e64 s0, s19, v8
	v_cndmask_b32_e64 v13, 0, -1, vcc_lo
	v_cmp_le_u32_e32 vcc_lo, s19, v10
	v_cndmask_b32_e64 v14, 0, -1, vcc_lo
	v_cmp_le_u32_e32 vcc_lo, s18, v7
	;; [unrolled: 2-line block ×3, first 2 shown]
	v_cndmask_b32_e64 v15, 0, -1, vcc_lo
	v_cmp_eq_u32_e32 vcc_lo, s19, v10
	v_cndmask_b32_e64 v7, v15, v7, s0
	v_cndmask_b32_e32 v10, v14, v13, vcc_lo
	v_add_co_u32 v13, vcc_lo, v4, 1
	v_add_co_ci_u32_e32 v14, vcc_lo, 0, v9, vcc_lo
	v_cmp_ne_u32_e32 vcc_lo, 0, v10
	v_cndmask_b32_e32 v8, v14, v12, vcc_lo
	v_cndmask_b32_e32 v10, v13, v11, vcc_lo
	v_cmp_ne_u32_e32 vcc_lo, 0, v7
	v_cndmask_b32_e32 v8, v9, v8, vcc_lo
	v_cndmask_b32_e32 v7, v4, v10, vcc_lo
.LBB0_4:                                ;   in Loop: Header=BB0_2 Depth=1
	s_andn2_saveexec_b32 s0, s1
	s_cbranch_execz .LBB0_6
; %bb.5:                                ;   in Loop: Header=BB0_2 Depth=1
	v_cvt_f32_u32_e32 v4, s18
	s_sub_i32 s1, 0, s18
	v_rcp_iflag_f32_e32 v4, v4
	v_mul_f32_e32 v4, 0x4f7ffffe, v4
	v_cvt_u32_f32_e32 v4, v4
	v_mul_lo_u32 v7, s1, v4
	v_mul_hi_u32 v7, v4, v7
	v_add_nc_u32_e32 v4, v4, v7
	v_mul_hi_u32 v4, v5, v4
	v_mul_lo_u32 v7, v4, s18
	v_add_nc_u32_e32 v8, 1, v4
	v_sub_nc_u32_e32 v7, v5, v7
	v_subrev_nc_u32_e32 v9, s18, v7
	v_cmp_le_u32_e32 vcc_lo, s18, v7
	v_cndmask_b32_e32 v7, v7, v9, vcc_lo
	v_cndmask_b32_e32 v4, v4, v8, vcc_lo
	v_cmp_le_u32_e32 vcc_lo, s18, v7
	v_add_nc_u32_e32 v8, 1, v4
	v_cndmask_b32_e32 v7, v4, v8, vcc_lo
	v_mov_b32_e32 v8, v3
.LBB0_6:                                ;   in Loop: Header=BB0_2 Depth=1
	s_or_b32 exec_lo, exec_lo, s0
	s_load_dwordx2 s[0:1], s[6:7], 0x0
	v_mul_lo_u32 v4, v8, s18
	v_mul_lo_u32 v11, v7, s19
	v_mad_u64_u32 v[9:10], null, v7, s18, 0
	s_add_u32 s16, s16, 1
	s_addc_u32 s17, s17, 0
	s_add_u32 s6, s6, 8
	s_addc_u32 s7, s7, 0
	;; [unrolled: 2-line block ×3, first 2 shown]
	v_add3_u32 v4, v10, v11, v4
	v_sub_co_u32 v5, vcc_lo, v5, v9
	v_sub_co_ci_u32_e32 v4, vcc_lo, v6, v4, vcc_lo
	s_waitcnt lgkmcnt(0)
	v_mul_lo_u32 v6, s1, v5
	v_mul_lo_u32 v4, s0, v4
	v_mad_u64_u32 v[1:2], null, s0, v5, v[1:2]
	v_cmp_ge_u64_e64 s0, s[16:17], s[10:11]
	s_and_b32 vcc_lo, exec_lo, s0
	v_add3_u32 v2, v6, v2, v4
	s_cbranch_vccnz .LBB0_9
; %bb.7:                                ;   in Loop: Header=BB0_2 Depth=1
	v_mov_b32_e32 v5, v7
	v_mov_b32_e32 v6, v8
	s_branch .LBB0_2
.LBB0_8:
	v_mov_b32_e32 v8, v6
	v_mov_b32_e32 v7, v5
.LBB0_9:
	s_lshl_b64 s[0:1], s[10:11], 3
	v_mul_hi_u32 v5, 0x2492493, v0
	s_add_u32 s0, s12, s0
	s_addc_u32 s1, s13, s1
	s_load_dwordx2 s[0:1], s[0:1], 0x0
	s_load_dwordx2 s[4:5], s[4:5], 0x20
	s_waitcnt lgkmcnt(0)
	v_mul_lo_u32 v3, s0, v8
	v_mul_lo_u32 v4, s1, v7
	v_mad_u64_u32 v[1:2], null, s0, v7, v[1:2]
	v_cmp_gt_u64_e32 vcc_lo, s[4:5], v[7:8]
	v_add3_u32 v2, v4, v2, v3
	v_mul_u32_u24_e32 v3, 0x70, v5
	v_lshlrev_b64 v[58:59], 4, v[1:2]
	v_sub_nc_u32_e32 v56, v0, v3
	s_and_saveexec_b32 s1, vcc_lo
	s_cbranch_execz .LBB0_13
; %bb.10:
	v_mov_b32_e32 v57, 0
	v_add_co_u32 v0, s0, s2, v58
	v_add_co_ci_u32_e64 v1, s0, s3, v59, s0
	v_lshlrev_b64 v[2:3], 4, v[56:57]
	v_lshl_add_u32 v34, v56, 4, 0
	s_mov_b32 s4, exec_lo
	v_add_co_u32 v10, s0, v0, v2
	v_add_co_ci_u32_e64 v11, s0, v1, v3, s0
	s_clause 0x1
	global_load_dwordx4 v[2:5], v[10:11], off
	global_load_dwordx4 v[6:9], v[10:11], off offset:1792
	v_add_co_u32 v12, s0, 0x800, v10
	v_add_co_ci_u32_e64 v13, s0, 0, v11, s0
	v_add_co_u32 v14, s0, 0x1000, v10
	v_add_co_ci_u32_e64 v15, s0, 0, v11, s0
	;; [unrolled: 2-line block ×6, first 2 shown]
	s_clause 0x5
	global_load_dwordx4 v[10:13], v[12:13], off offset:1536
	global_load_dwordx4 v[14:17], v[14:15], off offset:1280
	;; [unrolled: 1-line block ×6, first 2 shown]
	s_waitcnt vmcnt(7)
	ds_write_b128 v34, v[2:5]
	s_waitcnt vmcnt(6)
	ds_write_b128 v34, v[6:9] offset:1792
	s_waitcnt vmcnt(5)
	ds_write_b128 v34, v[10:13] offset:3584
	;; [unrolled: 2-line block ×7, first 2 shown]
	v_cmpx_eq_u32_e32 0x6f, v56
	s_cbranch_execz .LBB0_12
; %bb.11:
	v_add_co_u32 v0, s0, 0x3800, v0
	v_add_co_ci_u32_e64 v1, s0, 0, v1, s0
	v_mov_b32_e32 v56, 0x6f
	global_load_dwordx4 v[0:3], v[0:1], off
	s_waitcnt vmcnt(0)
	ds_write_b128 v57, v[0:3] offset:14336
.LBB0_12:
	s_or_b32 exec_lo, exec_lo, s4
.LBB0_13:
	s_or_b32 exec_lo, exec_lo, s1
	v_lshlrev_b32_e32 v0, 4, v56
	s_waitcnt lgkmcnt(0)
	s_barrier
	buffer_gl0_inv
	s_add_u32 s1, s8, 0x37e0
	v_add_nc_u32_e32 v60, 0, v0
	v_sub_nc_u32_e32 v10, 0, v0
	s_addc_u32 s4, s9, 0
	s_mov_b32 s5, exec_lo
                                        ; implicit-def: $vgpr4_vgpr5
	ds_read_b64 v[6:7], v60
	ds_read_b64 v[8:9], v10 offset:14336
	s_waitcnt lgkmcnt(0)
	v_add_f64 v[0:1], v[6:7], v[8:9]
	v_add_f64 v[2:3], v[6:7], -v[8:9]
	v_cmpx_ne_u32_e32 0, v56
	s_xor_b32 s5, exec_lo, s5
	s_cbranch_execz .LBB0_15
; %bb.14:
	v_mov_b32_e32 v57, 0
	v_add_f64 v[13:14], v[6:7], v[8:9]
	v_add_f64 v[15:16], v[6:7], -v[8:9]
	v_lshlrev_b64 v[0:1], 4, v[56:57]
	v_add_co_u32 v0, s0, s1, v0
	v_add_co_ci_u32_e64 v1, s0, s4, v1, s0
	global_load_dwordx4 v[2:5], v[0:1], off
	ds_read_b64 v[0:1], v10 offset:14344
	ds_read_b64 v[11:12], v60 offset:8
	s_waitcnt lgkmcnt(0)
	v_add_f64 v[6:7], v[0:1], v[11:12]
	v_add_f64 v[0:1], v[11:12], -v[0:1]
	s_waitcnt vmcnt(0)
	v_fma_f64 v[8:9], v[15:16], v[4:5], v[13:14]
	v_fma_f64 v[11:12], -v[15:16], v[4:5], v[13:14]
	v_fma_f64 v[13:14], v[6:7], v[4:5], -v[0:1]
	v_fma_f64 v[4:5], v[6:7], v[4:5], v[0:1]
	v_fma_f64 v[0:1], -v[6:7], v[2:3], v[8:9]
	v_fma_f64 v[6:7], v[6:7], v[2:3], v[11:12]
	v_fma_f64 v[8:9], v[15:16], v[2:3], v[13:14]
	;; [unrolled: 1-line block ×3, first 2 shown]
	v_mov_b32_e32 v4, v56
	v_mov_b32_e32 v5, v57
	ds_write_b128 v10, v[6:9] offset:14336
.LBB0_15:
	s_andn2_saveexec_b32 s0, s5
	s_cbranch_execz .LBB0_17
; %bb.16:
	v_mov_b32_e32 v8, 0
	ds_read_b128 v[4:7], v8 offset:7168
	s_waitcnt lgkmcnt(0)
	v_add_f64 v[11:12], v[4:5], v[4:5]
	v_mul_f64 v[13:14], v[6:7], -2.0
	v_mov_b32_e32 v4, 0
	v_mov_b32_e32 v5, 0
	ds_write_b128 v8, v[11:14] offset:7168
.LBB0_17:
	s_or_b32 exec_lo, exec_lo, s0
	v_lshlrev_b64 v[4:5], 4, v[4:5]
	ds_write_b128 v60, v[0:3]
	v_and_b32_e32 v44, 1, v56
	v_add_nc_u32_e32 v57, 0x70, v56
	v_and_b32_e32 v50, 3, v56
	v_and_b32_e32 v51, 7, v56
	v_add_co_u32 v8, s0, s1, v4
	v_add_co_ci_u32_e64 v9, s0, s4, v5, s0
	v_lshlrev_b32_e32 v38, 4, v44
	v_add_co_u32 v11, s0, 0x800, v8
	global_load_dwordx4 v[4:7], v[8:9], off offset:1792
	v_add_co_ci_u32_e64 v12, s0, 0, v9, s0
	v_add_co_u32 v8, s0, 0x1000, v8
	v_add_co_ci_u32_e64 v9, s0, 0, v9, s0
	global_load_dwordx4 v[11:14], v[11:12], off offset:1536
	v_and_b32_e32 v52, 31, v56
	v_and_b32_e32 v54, 31, v57
	global_load_dwordx4 v[15:18], v[8:9], off offset:1280
	ds_read_b128 v[0:3], v60 offset:1792
	ds_read_b128 v[19:22], v10 offset:12544
	v_and_b32_e32 v55, 63, v56
	v_and_b32_e32 v61, 63, v57
	v_cmp_gt_u32_e64 s0, 16, v56
	s_waitcnt lgkmcnt(0)
	v_add_f64 v[8:9], v[0:1], v[19:20]
	v_add_f64 v[23:24], v[21:22], v[2:3]
	v_add_f64 v[19:20], v[0:1], -v[19:20]
	v_add_f64 v[0:1], v[2:3], -v[21:22]
	s_waitcnt vmcnt(2)
	v_fma_f64 v[2:3], v[19:20], v[6:7], v[8:9]
	v_fma_f64 v[21:22], v[23:24], v[6:7], v[0:1]
	v_fma_f64 v[8:9], -v[19:20], v[6:7], v[8:9]
	v_fma_f64 v[25:26], v[23:24], v[6:7], -v[0:1]
	v_fma_f64 v[0:1], -v[23:24], v[4:5], v[2:3]
	v_fma_f64 v[2:3], v[19:20], v[4:5], v[21:22]
	v_fma_f64 v[6:7], v[23:24], v[4:5], v[8:9]
	v_fma_f64 v[8:9], v[19:20], v[4:5], v[25:26]
	ds_write_b128 v60, v[0:3] offset:1792
	ds_write_b128 v10, v[6:9] offset:12544
	ds_read_b128 v[0:3], v60 offset:3584
	ds_read_b128 v[4:7], v10 offset:10752
	s_waitcnt lgkmcnt(0)
	v_add_f64 v[8:9], v[0:1], v[4:5]
	v_add_f64 v[19:20], v[6:7], v[2:3]
	v_add_f64 v[21:22], v[0:1], -v[4:5]
	v_add_f64 v[0:1], v[2:3], -v[6:7]
	s_waitcnt vmcnt(1)
	v_fma_f64 v[2:3], v[21:22], v[13:14], v[8:9]
	v_fma_f64 v[4:5], v[19:20], v[13:14], v[0:1]
	v_fma_f64 v[6:7], -v[21:22], v[13:14], v[8:9]
	v_fma_f64 v[8:9], v[19:20], v[13:14], -v[0:1]
	v_fma_f64 v[0:1], -v[19:20], v[11:12], v[2:3]
	v_fma_f64 v[2:3], v[21:22], v[11:12], v[4:5]
	v_fma_f64 v[4:5], v[19:20], v[11:12], v[6:7]
	;; [unrolled: 1-line block ×3, first 2 shown]
	ds_write_b128 v60, v[0:3] offset:3584
	ds_write_b128 v10, v[4:7] offset:10752
	ds_read_b128 v[0:3], v60 offset:5376
	ds_read_b128 v[4:7], v10 offset:8960
	s_waitcnt lgkmcnt(0)
	v_add_f64 v[8:9], v[0:1], v[4:5]
	v_add_f64 v[11:12], v[6:7], v[2:3]
	v_add_f64 v[13:14], v[0:1], -v[4:5]
	v_add_f64 v[0:1], v[2:3], -v[6:7]
	s_waitcnt vmcnt(0)
	v_fma_f64 v[2:3], v[13:14], v[17:18], v[8:9]
	v_fma_f64 v[4:5], v[11:12], v[17:18], v[0:1]
	v_fma_f64 v[6:7], -v[13:14], v[17:18], v[8:9]
	v_fma_f64 v[8:9], v[11:12], v[17:18], -v[0:1]
	v_fma_f64 v[0:1], -v[11:12], v[15:16], v[2:3]
	v_fma_f64 v[2:3], v[13:14], v[15:16], v[4:5]
	v_fma_f64 v[4:5], v[11:12], v[15:16], v[6:7]
	;; [unrolled: 1-line block ×3, first 2 shown]
	ds_write_b128 v60, v[0:3] offset:5376
	ds_write_b128 v10, v[4:7] offset:8960
	s_waitcnt lgkmcnt(0)
	s_barrier
	buffer_gl0_inv
	s_barrier
	buffer_gl0_inv
	ds_read_b128 v[0:3], v60 offset:7168
	ds_read_b128 v[4:7], v60
	ds_read_b128 v[8:11], v60 offset:1792
	ds_read_b128 v[12:15], v60 offset:8960
	;; [unrolled: 1-line block ×6, first 2 shown]
	s_waitcnt lgkmcnt(0)
	s_barrier
	buffer_gl0_inv
	v_add_f64 v[32:33], v[4:5], -v[0:1]
	v_add_f64 v[34:35], v[6:7], -v[2:3]
	;; [unrolled: 1-line block ×8, first 2 shown]
	v_add_nc_u32_e32 v1, 0xe0, v56
	v_add_nc_u32_e32 v0, 0x150, v56
	v_lshl_add_u32 v36, v1, 5, 0
	v_lshl_add_u32 v37, v0, 5, 0
	v_and_b32_e32 v53, 31, v0
	v_and_b32_e32 v63, 63, v0
	;; [unrolled: 1-line block ×3, first 2 shown]
	v_fma_f64 v[2:3], v[4:5], 2.0, -v[32:33]
	v_fma_f64 v[4:5], v[6:7], 2.0, -v[34:35]
	;; [unrolled: 1-line block ×8, first 2 shown]
	v_lshl_add_u32 v10, v56, 4, v60
	v_lshl_add_u32 v11, v57, 5, 0
	ds_write_b128 v10, v[32:35] offset:16
	ds_write_b128 v11, v[12:15] offset:16
	;; [unrolled: 1-line block ×4, first 2 shown]
	ds_write_b128 v10, v[2:5]
	ds_write_b128 v11, v[6:9]
	;; [unrolled: 1-line block ×4, first 2 shown]
	s_waitcnt lgkmcnt(0)
	s_barrier
	buffer_gl0_inv
	global_load_dwordx4 v[2:5], v38, s[8:9]
	ds_read_b128 v[6:9], v60 offset:7168
	ds_read_b128 v[10:13], v60 offset:8960
	;; [unrolled: 1-line block ×4, first 2 shown]
	ds_read_b128 v[22:25], v60
	ds_read_b128 v[26:29], v60 offset:1792
	s_waitcnt vmcnt(0) lgkmcnt(5)
	v_mul_f64 v[30:31], v[8:9], v[4:5]
	v_mul_f64 v[32:33], v[6:7], v[4:5]
	s_waitcnt lgkmcnt(4)
	v_mul_f64 v[34:35], v[12:13], v[4:5]
	v_mul_f64 v[36:37], v[10:11], v[4:5]
	s_waitcnt lgkmcnt(3)
	;; [unrolled: 3-line block ×3, first 2 shown]
	v_mul_f64 v[42:43], v[20:21], v[4:5]
	v_mul_f64 v[4:5], v[18:19], v[4:5]
	v_fma_f64 v[6:7], v[6:7], v[2:3], -v[30:31]
	v_fma_f64 v[30:31], v[8:9], v[2:3], v[32:33]
	v_fma_f64 v[32:33], v[10:11], v[2:3], -v[34:35]
	v_fma_f64 v[34:35], v[12:13], v[2:3], v[36:37]
	;; [unrolled: 2-line block ×3, first 2 shown]
	v_fma_f64 v[40:41], v[18:19], v[2:3], -v[42:43]
	ds_read_b128 v[8:11], v60 offset:3584
	ds_read_b128 v[12:15], v60 offset:5376
	v_fma_f64 v[2:3], v[20:21], v[2:3], v[4:5]
	v_lshlrev_b32_e32 v5, 1, v57
	v_lshlrev_b32_e32 v4, 1, v0
	;; [unrolled: 1-line block ×3, first 2 shown]
	s_waitcnt lgkmcnt(0)
	s_barrier
	buffer_gl0_inv
	v_and_or_b32 v0, 0x1c0, v5, v54
	v_lshl_add_u32 v0, v0, 4, 0
	v_add_f64 v[16:17], v[22:23], -v[6:7]
	v_add_f64 v[18:19], v[24:25], -v[30:31]
	;; [unrolled: 1-line block ×4, first 2 shown]
	v_lshlrev_b32_e32 v7, 1, v56
	v_add_f64 v[34:35], v[8:9], -v[36:37]
	v_add_f64 v[36:37], v[10:11], -v[38:39]
	;; [unrolled: 1-line block ×3, first 2 shown]
	v_lshlrev_b32_e32 v6, 1, v1
	v_add_f64 v[40:41], v[14:15], -v[2:3]
	v_and_or_b32 v2, 0xfc, v7, v44
	v_and_or_b32 v3, 0x1fc, v5, v44
	;; [unrolled: 1-line block ×3, first 2 shown]
	v_lshl_add_u32 v2, v2, 4, 0
	v_lshl_add_u32 v3, v3, 4, 0
	;; [unrolled: 1-line block ×3, first 2 shown]
	v_fma_f64 v[20:21], v[22:23], 2.0, -v[16:17]
	v_fma_f64 v[22:23], v[24:25], 2.0, -v[18:19]
	;; [unrolled: 1-line block ×4, first 2 shown]
	v_and_or_b32 v28, 0x3fc, v6, v44
	v_fma_f64 v[8:9], v[8:9], 2.0, -v[34:35]
	v_fma_f64 v[10:11], v[10:11], 2.0, -v[36:37]
	;; [unrolled: 1-line block ×3, first 2 shown]
	v_and_or_b32 v29, 0x3fc, v4, v44
	v_fma_f64 v[14:15], v[14:15], 2.0, -v[40:41]
	v_lshl_add_u32 v28, v28, 4, 0
	v_lshl_add_u32 v29, v29, 4, 0
	ds_write_b128 v2, v[16:19] offset:32
	ds_write_b128 v2, v[20:23]
	ds_write_b128 v3, v[24:27]
	ds_write_b128 v3, v[30:33] offset:32
	ds_write_b128 v28, v[8:11]
	ds_write_b128 v28, v[34:37] offset:32
	;; [unrolled: 2-line block ×3, first 2 shown]
	s_waitcnt lgkmcnt(0)
	s_barrier
	buffer_gl0_inv
	global_load_dwordx4 v[8:11], v42, s[8:9] offset:32
	ds_read_b128 v[12:15], v60 offset:7168
	ds_read_b128 v[16:19], v60 offset:8960
	;; [unrolled: 1-line block ×4, first 2 shown]
	ds_read_b128 v[28:31], v60
	ds_read_b128 v[32:35], v60 offset:1792
	s_waitcnt vmcnt(0) lgkmcnt(5)
	v_mul_f64 v[2:3], v[14:15], v[10:11]
	v_mul_f64 v[36:37], v[12:13], v[10:11]
	s_waitcnt lgkmcnt(4)
	v_mul_f64 v[38:39], v[18:19], v[10:11]
	v_mul_f64 v[40:41], v[16:17], v[10:11]
	s_waitcnt lgkmcnt(3)
	;; [unrolled: 3-line block ×3, first 2 shown]
	v_mul_f64 v[46:47], v[26:27], v[10:11]
	v_mul_f64 v[48:49], v[24:25], v[10:11]
	v_fma_f64 v[2:3], v[12:13], v[8:9], -v[2:3]
	v_fma_f64 v[36:37], v[14:15], v[8:9], v[36:37]
	v_fma_f64 v[38:39], v[16:17], v[8:9], -v[38:39]
	v_fma_f64 v[40:41], v[18:19], v[8:9], v[40:41]
	;; [unrolled: 2-line block ×3, first 2 shown]
	v_fma_f64 v[46:47], v[24:25], v[8:9], -v[46:47]
	ds_read_b128 v[10:13], v60 offset:3584
	ds_read_b128 v[14:17], v60 offset:5376
	v_fma_f64 v[8:9], v[26:27], v[8:9], v[48:49]
	s_waitcnt lgkmcnt(0)
	s_barrier
	buffer_gl0_inv
	v_add_f64 v[18:19], v[28:29], -v[2:3]
	v_add_f64 v[20:21], v[30:31], -v[36:37]
	;; [unrolled: 1-line block ×4, first 2 shown]
	v_and_or_b32 v2, 0xf8, v7, v50
	v_add_f64 v[36:37], v[10:11], -v[42:43]
	v_add_f64 v[38:39], v[12:13], -v[44:45]
	;; [unrolled: 1-line block ×3, first 2 shown]
	v_and_or_b32 v3, 0x1f8, v5, v50
	v_add_f64 v[42:43], v[16:17], -v[8:9]
	v_lshl_add_u32 v2, v2, 4, 0
	v_lshl_add_u32 v3, v3, 4, 0
	v_fma_f64 v[26:27], v[28:29], 2.0, -v[18:19]
	v_fma_f64 v[28:29], v[30:31], 2.0, -v[20:21]
	;; [unrolled: 1-line block ×4, first 2 shown]
	v_lshlrev_b32_e32 v34, 4, v51
	v_fma_f64 v[8:9], v[10:11], 2.0, -v[36:37]
	v_fma_f64 v[10:11], v[12:13], 2.0, -v[38:39]
	;; [unrolled: 1-line block ×4, first 2 shown]
	v_and_or_b32 v16, 0x3f8, v6, v50
	v_and_or_b32 v17, 0x3f8, v4, v50
	v_and_b32_e32 v50, 15, v56
	v_lshl_add_u32 v16, v16, 4, 0
	v_lshl_add_u32 v17, v17, 4, 0
	ds_write_b128 v2, v[18:21] offset:64
	ds_write_b128 v2, v[26:29]
	ds_write_b128 v3, v[30:33]
	ds_write_b128 v3, v[22:25] offset:64
	ds_write_b128 v16, v[8:11]
	ds_write_b128 v16, v[36:39] offset:64
	;; [unrolled: 2-line block ×3, first 2 shown]
	s_waitcnt lgkmcnt(0)
	s_barrier
	buffer_gl0_inv
	global_load_dwordx4 v[8:11], v34, s[8:9] offset:96
	ds_read_b128 v[12:15], v60 offset:7168
	ds_read_b128 v[16:19], v60 offset:8960
	;; [unrolled: 1-line block ×4, first 2 shown]
	ds_read_b128 v[28:31], v60
	ds_read_b128 v[32:35], v60 offset:1792
	s_waitcnt vmcnt(0) lgkmcnt(5)
	v_mul_f64 v[2:3], v[14:15], v[10:11]
	v_mul_f64 v[36:37], v[12:13], v[10:11]
	s_waitcnt lgkmcnt(4)
	v_mul_f64 v[38:39], v[18:19], v[10:11]
	v_mul_f64 v[40:41], v[16:17], v[10:11]
	s_waitcnt lgkmcnt(3)
	;; [unrolled: 3-line block ×3, first 2 shown]
	v_mul_f64 v[46:47], v[26:27], v[10:11]
	v_mul_f64 v[48:49], v[24:25], v[10:11]
	v_fma_f64 v[2:3], v[12:13], v[8:9], -v[2:3]
	v_fma_f64 v[36:37], v[14:15], v[8:9], v[36:37]
	v_fma_f64 v[38:39], v[16:17], v[8:9], -v[38:39]
	v_fma_f64 v[40:41], v[18:19], v[8:9], v[40:41]
	;; [unrolled: 2-line block ×3, first 2 shown]
	v_fma_f64 v[46:47], v[24:25], v[8:9], -v[46:47]
	ds_read_b128 v[10:13], v60 offset:3584
	ds_read_b128 v[14:17], v60 offset:5376
	v_fma_f64 v[8:9], v[26:27], v[8:9], v[48:49]
	s_waitcnt lgkmcnt(0)
	s_barrier
	buffer_gl0_inv
	v_add_f64 v[18:19], v[28:29], -v[2:3]
	v_add_f64 v[20:21], v[30:31], -v[36:37]
	;; [unrolled: 1-line block ×4, first 2 shown]
	v_and_or_b32 v2, 0xf0, v7, v51
	v_add_f64 v[36:37], v[10:11], -v[42:43]
	v_add_f64 v[38:39], v[12:13], -v[44:45]
	;; [unrolled: 1-line block ×3, first 2 shown]
	v_and_or_b32 v3, 0x1f0, v5, v51
	v_add_f64 v[42:43], v[16:17], -v[8:9]
	v_lshl_add_u32 v2, v2, 4, 0
	v_lshl_add_u32 v3, v3, 4, 0
	v_fma_f64 v[26:27], v[28:29], 2.0, -v[18:19]
	v_fma_f64 v[28:29], v[30:31], 2.0, -v[20:21]
	;; [unrolled: 1-line block ×4, first 2 shown]
	v_lshlrev_b32_e32 v34, 4, v50
	v_fma_f64 v[8:9], v[10:11], 2.0, -v[36:37]
	v_fma_f64 v[10:11], v[12:13], 2.0, -v[38:39]
	;; [unrolled: 1-line block ×4, first 2 shown]
	v_and_or_b32 v16, 0x3f0, v6, v51
	v_and_or_b32 v17, 0x3f0, v4, v51
	v_lshl_add_u32 v16, v16, 4, 0
	v_lshl_add_u32 v17, v17, 4, 0
	ds_write_b128 v2, v[18:21] offset:128
	ds_write_b128 v2, v[26:29]
	ds_write_b128 v3, v[30:33]
	ds_write_b128 v3, v[22:25] offset:128
	ds_write_b128 v16, v[8:11]
	ds_write_b128 v16, v[36:39] offset:128
	;; [unrolled: 2-line block ×3, first 2 shown]
	s_waitcnt lgkmcnt(0)
	s_barrier
	buffer_gl0_inv
	global_load_dwordx4 v[8:11], v34, s[8:9] offset:224
	ds_read_b128 v[12:15], v60 offset:7168
	ds_read_b128 v[16:19], v60 offset:8960
	;; [unrolled: 1-line block ×4, first 2 shown]
	ds_read_b128 v[28:31], v60
	ds_read_b128 v[32:35], v60 offset:1792
	s_waitcnt vmcnt(0) lgkmcnt(5)
	v_mul_f64 v[2:3], v[14:15], v[10:11]
	v_mul_f64 v[36:37], v[12:13], v[10:11]
	s_waitcnt lgkmcnt(4)
	v_mul_f64 v[38:39], v[18:19], v[10:11]
	v_mul_f64 v[40:41], v[16:17], v[10:11]
	s_waitcnt lgkmcnt(3)
	;; [unrolled: 3-line block ×3, first 2 shown]
	v_mul_f64 v[46:47], v[26:27], v[10:11]
	v_mul_f64 v[48:49], v[24:25], v[10:11]
	v_fma_f64 v[2:3], v[12:13], v[8:9], -v[2:3]
	v_fma_f64 v[36:37], v[14:15], v[8:9], v[36:37]
	v_fma_f64 v[38:39], v[16:17], v[8:9], -v[38:39]
	v_fma_f64 v[40:41], v[18:19], v[8:9], v[40:41]
	;; [unrolled: 2-line block ×3, first 2 shown]
	v_fma_f64 v[46:47], v[24:25], v[8:9], -v[46:47]
	ds_read_b128 v[10:13], v60 offset:3584
	ds_read_b128 v[14:17], v60 offset:5376
	v_fma_f64 v[8:9], v[26:27], v[8:9], v[48:49]
	s_waitcnt lgkmcnt(0)
	s_barrier
	buffer_gl0_inv
	v_add_f64 v[18:19], v[28:29], -v[2:3]
	v_add_f64 v[20:21], v[30:31], -v[36:37]
	;; [unrolled: 1-line block ×4, first 2 shown]
	v_and_or_b32 v2, 0xe0, v7, v50
	v_add_f64 v[36:37], v[10:11], -v[42:43]
	v_add_f64 v[38:39], v[12:13], -v[44:45]
	;; [unrolled: 1-line block ×3, first 2 shown]
	v_lshlrev_b32_e32 v3, 4, v52
	v_add_f64 v[42:43], v[16:17], -v[8:9]
	v_lshl_add_u32 v2, v2, 4, 0
	v_fma_f64 v[26:27], v[28:29], 2.0, -v[18:19]
	v_fma_f64 v[28:29], v[30:31], 2.0, -v[20:21]
	;; [unrolled: 1-line block ×4, first 2 shown]
	v_and_or_b32 v34, 0x3e0, v4, v50
	v_fma_f64 v[8:9], v[10:11], 2.0, -v[36:37]
	v_fma_f64 v[10:11], v[12:13], 2.0, -v[38:39]
	;; [unrolled: 1-line block ×3, first 2 shown]
	v_lshlrev_b32_e32 v35, 4, v53
	v_fma_f64 v[14:15], v[16:17], 2.0, -v[42:43]
	v_and_or_b32 v16, 0x1e0, v5, v50
	v_and_or_b32 v17, 0x3e0, v6, v50
	v_lshl_add_u32 v34, v34, 4, 0
	v_and_or_b32 v5, 0x180, v5, v61
	v_and_or_b32 v6, 0x380, v6, v62
	v_lshl_add_u32 v16, v16, 4, 0
	v_lshl_add_u32 v17, v17, 4, 0
	ds_write_b128 v2, v[18:21] offset:256
	ds_write_b128 v2, v[26:29]
	ds_write_b128 v16, v[30:33]
	ds_write_b128 v16, v[22:25] offset:256
	ds_write_b128 v17, v[8:11]
	ds_write_b128 v17, v[36:39] offset:256
	;; [unrolled: 2-line block ×3, first 2 shown]
	s_waitcnt lgkmcnt(0)
	s_barrier
	buffer_gl0_inv
	s_clause 0x2
	global_load_dwordx4 v[8:11], v3, s[8:9] offset:480
	global_load_dwordx4 v[12:15], v35, s[8:9] offset:480
	global_load_dwordx2 v[2:3], v35, s[8:9] offset:488
	v_lshlrev_b32_e32 v16, 4, v54
	v_lshl_add_u32 v5, v5, 4, 0
	v_lshl_add_u32 v6, v6, 4, 0
	global_load_dwordx2 v[40:41], v16, s[8:9] offset:480
	ds_read_b128 v[16:19], v60 offset:7168
	ds_read_b128 v[20:23], v60 offset:8960
	;; [unrolled: 1-line block ×4, first 2 shown]
	ds_read_b128 v[32:35], v60
	ds_read_b128 v[36:39], v60 offset:1792
	s_waitcnt vmcnt(3) lgkmcnt(5)
	v_mul_f64 v[42:43], v[18:19], v[10:11]
	v_mul_f64 v[44:45], v[16:17], v[10:11]
	s_waitcnt vmcnt(2) lgkmcnt(4)
	v_mul_f64 v[46:47], v[22:23], v[14:15]
	v_mul_f64 v[14:15], v[20:21], v[14:15]
	s_waitcnt lgkmcnt(3)
	v_mul_f64 v[48:49], v[26:27], v[10:11]
	v_mul_f64 v[10:11], v[24:25], v[10:11]
	s_waitcnt vmcnt(1) lgkmcnt(2)
	v_mul_f64 v[50:51], v[30:31], v[2:3]
	v_mul_f64 v[2:3], v[28:29], v[2:3]
	v_fma_f64 v[16:17], v[16:17], v[8:9], -v[42:43]
	v_fma_f64 v[18:19], v[18:19], v[8:9], v[44:45]
	s_waitcnt vmcnt(0)
	v_fma_f64 v[20:21], v[20:21], v[40:41], -v[46:47]
	v_fma_f64 v[22:23], v[22:23], v[40:41], v[14:15]
	v_fma_f64 v[24:25], v[24:25], v[8:9], -v[48:49]
	v_fma_f64 v[26:27], v[26:27], v[8:9], v[10:11]
	v_fma_f64 v[28:29], v[28:29], v[12:13], -v[50:51]
	ds_read_b128 v[8:11], v60 offset:3584
	v_fma_f64 v[2:3], v[30:31], v[12:13], v[2:3]
	ds_read_b128 v[12:15], v60 offset:5376
	v_and_or_b32 v40, 0x3c0, v4, v53
	v_lshlrev_b32_e32 v41, 4, v61
	v_lshlrev_b32_e32 v42, 4, v62
	s_waitcnt lgkmcnt(0)
	s_barrier
	v_lshl_add_u32 v40, v40, 4, 0
	buffer_gl0_inv
	v_and_or_b32 v4, 0x380, v4, v63
	v_add_f64 v[16:17], v[32:33], -v[16:17]
	v_add_f64 v[18:19], v[34:35], -v[18:19]
	;; [unrolled: 1-line block ×4, first 2 shown]
	v_lshl_add_u32 v4, v4, 4, 0
	v_add_f64 v[24:25], v[8:9], -v[24:25]
	v_add_f64 v[26:27], v[10:11], -v[26:27]
	;; [unrolled: 1-line block ×4, first 2 shown]
	v_and_or_b32 v2, 0xc0, v7, v52
	v_lshlrev_b32_e32 v3, 4, v55
	v_and_or_b32 v7, 0x80, v7, v55
	v_lshl_add_u32 v2, v2, 4, 0
	v_lshl_add_u32 v7, v7, 4, 0
	v_fma_f64 v[32:33], v[32:33], 2.0, -v[16:17]
	v_fma_f64 v[34:35], v[34:35], 2.0, -v[18:19]
	v_fma_f64 v[36:37], v[36:37], 2.0, -v[20:21]
	v_fma_f64 v[38:39], v[38:39], 2.0, -v[22:23]
	v_fma_f64 v[8:9], v[8:9], 2.0, -v[24:25]
	v_fma_f64 v[10:11], v[10:11], 2.0, -v[26:27]
	v_fma_f64 v[12:13], v[12:13], 2.0, -v[28:29]
	v_fma_f64 v[14:15], v[14:15], 2.0, -v[30:31]
	ds_write_b128 v2, v[16:19] offset:512
	ds_write_b128 v2, v[32:35]
	ds_write_b128 v0, v[36:39]
	ds_write_b128 v0, v[20:23] offset:512
	ds_write_b128 v1, v[8:11]
	ds_write_b128 v1, v[24:27] offset:512
	;; [unrolled: 2-line block ×3, first 2 shown]
	s_waitcnt lgkmcnt(0)
	s_barrier
	buffer_gl0_inv
	global_load_dwordx4 v[0:3], v3, s[8:9] offset:992
	v_lshlrev_b32_e32 v16, 4, v63
	s_clause 0x2
	global_load_dwordx4 v[8:11], v41, s[8:9] offset:992
	global_load_dwordx4 v[12:15], v42, s[8:9] offset:992
	;; [unrolled: 1-line block ×3, first 2 shown]
	ds_read_b128 v[20:23], v60 offset:7168
	ds_read_b128 v[24:27], v60 offset:8960
	;; [unrolled: 1-line block ×4, first 2 shown]
	ds_read_b128 v[36:39], v60
	ds_read_b128 v[40:43], v60 offset:1792
	s_waitcnt vmcnt(3) lgkmcnt(5)
	v_mul_f64 v[44:45], v[22:23], v[2:3]
	v_mul_f64 v[2:3], v[20:21], v[2:3]
	s_waitcnt vmcnt(2) lgkmcnt(4)
	v_mul_f64 v[46:47], v[26:27], v[10:11]
	v_mul_f64 v[10:11], v[24:25], v[10:11]
	;; [unrolled: 3-line block ×4, first 2 shown]
	v_fma_f64 v[20:21], v[20:21], v[0:1], -v[44:45]
	v_fma_f64 v[0:1], v[22:23], v[0:1], v[2:3]
	v_fma_f64 v[2:3], v[24:25], v[8:9], -v[46:47]
	v_fma_f64 v[22:23], v[26:27], v[8:9], v[10:11]
	;; [unrolled: 2-line block ×3, first 2 shown]
	v_fma_f64 v[28:29], v[32:33], v[16:17], -v[50:51]
	ds_read_b128 v[8:11], v60 offset:3584
	ds_read_b128 v[12:15], v60 offset:5376
	v_fma_f64 v[30:31], v[34:35], v[16:17], v[18:19]
	s_waitcnt lgkmcnt(0)
	s_barrier
	buffer_gl0_inv
	v_add_f64 v[16:17], v[36:37], -v[20:21]
	v_add_f64 v[18:19], v[38:39], -v[0:1]
	v_add_f64 v[20:21], v[40:41], -v[2:3]
	v_add_f64 v[22:23], v[42:43], -v[22:23]
	v_add_f64 v[24:25], v[8:9], -v[24:25]
	v_add_f64 v[26:27], v[10:11], -v[26:27]
	v_add_f64 v[0:1], v[12:13], -v[28:29]
	v_add_f64 v[2:3], v[14:15], -v[30:31]
	v_fma_f64 v[28:29], v[36:37], 2.0, -v[16:17]
	v_fma_f64 v[30:31], v[38:39], 2.0, -v[18:19]
	;; [unrolled: 1-line block ×8, first 2 shown]
	ds_write_b128 v7, v[16:19] offset:1024
	ds_write_b128 v7, v[28:31]
	ds_write_b128 v5, v[32:35]
	ds_write_b128 v5, v[20:23] offset:1024
	ds_write_b128 v6, v[8:11]
	ds_write_b128 v6, v[24:27] offset:1024
	;; [unrolled: 2-line block ×3, first 2 shown]
	s_waitcnt lgkmcnt(0)
	s_barrier
	buffer_gl0_inv
	ds_read_b128 v[28:31], v60
	ds_read_b128 v[48:51], v60 offset:2048
	ds_read_b128 v[44:47], v60 offset:4096
	;; [unrolled: 1-line block ×6, first 2 shown]
                                        ; implicit-def: $vgpr26_vgpr27
                                        ; implicit-def: $vgpr22_vgpr23
                                        ; implicit-def: $vgpr18_vgpr19
                                        ; implicit-def: $vgpr14_vgpr15
                                        ; implicit-def: $vgpr10_vgpr11
                                        ; implicit-def: $vgpr6_vgpr7
	s_and_saveexec_b32 s1, s0
	s_cbranch_execz .LBB0_19
; %bb.18:
	ds_read_b128 v[0:3], v60 offset:1792
	ds_read_b128 v[4:7], v60 offset:3840
	;; [unrolled: 1-line block ×7, first 2 shown]
.LBB0_19:
	s_or_b32 exec_lo, exec_lo, s1
	v_mul_u32_u24_e32 v61, 6, v56
	s_mov_b32 s10, 0x37e14327
	s_mov_b32 s14, 0xe976ee23
	;; [unrolled: 1-line block ×4, first 2 shown]
	v_lshlrev_b32_e32 v65, 4, v61
	s_mov_b32 s6, 0x429ad128
	s_mov_b32 s4, 0x36b3c0b5
	s_mov_b32 s7, 0x3febfeb5
	s_mov_b32 s5, 0x3fac98ee
	v_add_co_u32 v77, s1, s8, v65
	v_add_co_ci_u32_e64 v78, null, s9, 0, s1
	global_load_dwordx4 v[61:64], v65, s[8:9] offset:2016
	v_add_co_u32 v69, s1, 0x820, v77
	v_add_co_ci_u32_e64 v70, s1, 0, v78, s1
	v_add_co_u32 v73, s1, 0x800, v77
	v_add_co_ci_u32_e64 v74, s1, 0, v78, s1
	s_clause 0x2
	global_load_dwordx4 v[65:68], v65, s[8:9] offset:2032
	global_load_dwordx4 v[69:72], v[69:70], off offset:16
	global_load_dwordx4 v[73:76], v[73:74], off offset:32
	v_add_co_u32 v81, s1, 0x7e0, v77
	v_add_co_ci_u32_e64 v82, s1, 0, v78, s1
	s_clause 0x1
	global_load_dwordx4 v[77:80], v[81:82], off offset:32
	global_load_dwordx4 v[81:84], v[81:82], off offset:48
	s_mov_b32 s12, 0xaaaaaaaa
	s_mov_b32 s20, 0xb247c609
	;; [unrolled: 1-line block ×12, first 2 shown]
	s_waitcnt vmcnt(0) lgkmcnt(0)
	s_barrier
	buffer_gl0_inv
	v_mul_f64 v[85:86], v[50:51], v[63:64]
	v_mul_f64 v[63:64], v[48:49], v[63:64]
	;; [unrolled: 1-line block ×12, first 2 shown]
	v_fma_f64 v[48:49], v[48:49], v[61:62], -v[85:86]
	v_fma_f64 v[50:51], v[50:51], v[61:62], v[63:64]
	v_fma_f64 v[44:45], v[44:45], v[65:66], -v[87:88]
	v_fma_f64 v[46:47], v[46:47], v[65:66], v[67:68]
	v_fma_f64 v[52:53], v[52:53], v[69:70], -v[89:90]
	v_fma_f64 v[54:55], v[54:55], v[69:70], v[71:72]
	v_fma_f64 v[40:41], v[40:41], v[73:74], -v[91:92]
	v_fma_f64 v[42:43], v[42:43], v[73:74], v[75:76]
	v_fma_f64 v[36:37], v[36:37], v[77:78], -v[93:94]
	v_fma_f64 v[38:39], v[38:39], v[77:78], v[79:80]
	v_fma_f64 v[32:33], v[32:33], v[81:82], -v[95:96]
	v_fma_f64 v[34:35], v[34:35], v[81:82], v[83:84]
	v_add_f64 v[61:62], v[48:49], v[52:53]
	v_add_f64 v[63:64], v[50:51], v[54:55]
	;; [unrolled: 1-line block ×4, first 2 shown]
	v_add_f64 v[40:41], v[44:45], -v[40:41]
	v_add_f64 v[42:43], v[46:47], -v[42:43]
	v_add_f64 v[44:45], v[36:37], v[32:33]
	v_add_f64 v[46:47], v[38:39], v[34:35]
	v_add_f64 v[32:33], v[32:33], -v[36:37]
	v_add_f64 v[34:35], v[34:35], -v[38:39]
	;; [unrolled: 1-line block ×4, first 2 shown]
	v_add_f64 v[48:49], v[65:66], v[61:62]
	v_add_f64 v[50:51], v[67:68], v[63:64]
	v_add_f64 v[52:53], v[61:62], -v[44:45]
	v_add_f64 v[54:55], v[63:64], -v[46:47]
	;; [unrolled: 1-line block ×6, first 2 shown]
	v_add_f64 v[40:41], v[32:33], v[40:41]
	v_add_f64 v[42:43], v[34:35], v[42:43]
	v_add_f64 v[32:33], v[36:37], -v[32:33]
	v_add_f64 v[34:35], v[38:39], -v[34:35]
	;; [unrolled: 1-line block ×4, first 2 shown]
	v_add_f64 v[48:49], v[44:45], v[48:49]
	v_add_f64 v[50:51], v[46:47], v[50:51]
	v_add_f64 v[44:45], v[44:45], -v[65:66]
	v_add_f64 v[46:47], v[46:47], -v[67:68]
	v_mul_f64 v[52:53], v[52:53], s[10:11]
	v_mul_f64 v[54:55], v[54:55], s[10:11]
	;; [unrolled: 1-line block ×6, first 2 shown]
	v_add_f64 v[36:37], v[40:41], v[36:37]
	v_add_f64 v[38:39], v[42:43], v[38:39]
	;; [unrolled: 1-line block ×4, first 2 shown]
	v_mul_f64 v[65:66], v[44:45], s[4:5]
	v_mul_f64 v[67:68], v[46:47], s[4:5]
	v_fma_f64 v[40:41], v[44:45], s[4:5], v[52:53]
	v_fma_f64 v[42:43], v[46:47], s[4:5], v[54:55]
	;; [unrolled: 1-line block ×4, first 2 shown]
	v_fma_f64 v[69:70], v[73:74], s[6:7], -v[69:70]
	v_fma_f64 v[71:72], v[75:76], s[6:7], -v[71:72]
	;; [unrolled: 1-line block ×6, first 2 shown]
	v_fma_f64 v[48:49], v[48:49], s[12:13], v[28:29]
	v_fma_f64 v[50:51], v[50:51], s[12:13], v[30:31]
	v_fma_f64 v[61:62], v[61:62], s[16:17], -v[65:66]
	v_fma_f64 v[63:64], v[63:64], s[16:17], -v[67:68]
	v_fma_f64 v[65:66], v[36:37], s[24:25], v[44:45]
	v_fma_f64 v[67:68], v[38:39], s[24:25], v[46:47]
	;; [unrolled: 1-line block ×6, first 2 shown]
	v_add_f64 v[73:74], v[40:41], v[48:49]
	v_add_f64 v[75:76], v[42:43], v[50:51]
	;; [unrolled: 1-line block ×7, first 2 shown]
	v_add_f64 v[34:35], v[75:76], -v[65:66]
	v_add_f64 v[36:37], v[71:72], v[52:53]
	v_add_f64 v[38:39], v[54:55], -v[69:70]
	v_add_f64 v[40:41], v[48:49], -v[44:45]
	v_add_f64 v[42:43], v[46:47], v[50:51]
	v_add_f64 v[44:45], v[44:45], v[48:49]
	v_add_f64 v[46:47], v[50:51], -v[46:47]
	v_add_f64 v[48:49], v[52:53], -v[71:72]
	v_add_f64 v[50:51], v[69:70], v[54:55]
	v_add_f64 v[52:53], v[73:74], -v[67:68]
	v_add_f64 v[54:55], v[65:66], v[75:76]
	ds_write_b128 v60, v[28:31]
	ds_write_b128 v60, v[32:35] offset:2048
	ds_write_b128 v60, v[36:39] offset:4096
	;; [unrolled: 1-line block ×6, first 2 shown]
	s_and_saveexec_b32 s1, s0
	s_cbranch_execz .LBB0_21
; %bb.20:
	v_and_b32_e32 v28, 0x7f, v57
	v_mul_u32_u24_e32 v28, 6, v28
	v_lshlrev_b32_e32 v32, 4, v28
	v_add_co_u32 v44, s0, s8, v32
	v_add_co_ci_u32_e64 v45, null, s9, 0, s0
	v_add_co_u32 v36, s0, 0x800, v44
	v_add_co_ci_u32_e64 v37, s0, 0, v45, s0
	v_add_co_u32 v40, s0, 0x820, v44
	v_add_co_ci_u32_e64 v41, s0, 0, v45, s0
	s_clause 0x3
	global_load_dwordx4 v[28:31], v32, s[8:9] offset:2032
	global_load_dwordx4 v[32:35], v32, s[8:9] offset:2016
	global_load_dwordx4 v[36:39], v[36:37], off offset:32
	global_load_dwordx4 v[40:43], v[40:41], off offset:16
	v_add_co_u32 v48, s0, 0x7e0, v44
	v_add_co_ci_u32_e64 v49, s0, 0, v45, s0
	s_clause 0x1
	global_load_dwordx4 v[44:47], v[48:49], off offset:48
	global_load_dwordx4 v[48:51], v[48:49], off offset:32
	s_waitcnt vmcnt(5)
	v_mul_f64 v[52:53], v[8:9], v[30:31]
	s_waitcnt vmcnt(4)
	v_mul_f64 v[54:55], v[4:5], v[34:35]
	;; [unrolled: 2-line block ×4, first 2 shown]
	v_mul_f64 v[30:31], v[10:11], v[30:31]
	v_mul_f64 v[34:35], v[6:7], v[34:35]
	;; [unrolled: 1-line block ×4, first 2 shown]
	s_waitcnt vmcnt(1)
	v_mul_f64 v[65:66], v[18:19], v[46:47]
	s_waitcnt vmcnt(0)
	v_mul_f64 v[67:68], v[14:15], v[50:51]
	v_mul_f64 v[50:51], v[12:13], v[50:51]
	;; [unrolled: 1-line block ×3, first 2 shown]
	v_fma_f64 v[10:11], v[10:11], v[28:29], v[52:53]
	v_fma_f64 v[6:7], v[6:7], v[32:33], v[54:55]
	;; [unrolled: 1-line block ×4, first 2 shown]
	v_fma_f64 v[8:9], v[8:9], v[28:29], -v[30:31]
	v_fma_f64 v[4:5], v[4:5], v[32:33], -v[34:35]
	;; [unrolled: 1-line block ×6, first 2 shown]
	v_fma_f64 v[14:15], v[14:15], v[48:49], v[50:51]
	v_fma_f64 v[18:19], v[18:19], v[44:45], v[46:47]
	v_add_f64 v[28:29], v[10:11], v[22:23]
	v_add_f64 v[30:31], v[6:7], v[26:27]
	v_add_f64 v[10:11], v[10:11], -v[22:23]
	v_add_f64 v[6:7], v[6:7], -v[26:27]
	v_add_f64 v[32:33], v[8:9], v[20:21]
	v_add_f64 v[34:35], v[4:5], v[24:25]
	v_add_f64 v[8:9], v[8:9], -v[20:21]
	v_add_f64 v[4:5], v[4:5], -v[24:25]
	;; [unrolled: 1-line block ×3, first 2 shown]
	v_add_f64 v[12:13], v[12:13], v[16:17]
	v_add_f64 v[20:21], v[14:15], v[18:19]
	v_add_f64 v[14:15], v[18:19], -v[14:15]
	v_add_f64 v[16:17], v[28:29], v[30:31]
	v_add_f64 v[42:43], v[10:11], -v[6:7]
	;; [unrolled: 2-line block ×3, first 2 shown]
	v_add_f64 v[22:23], v[36:37], -v[8:9]
	v_add_f64 v[26:27], v[34:35], -v[12:13]
	;; [unrolled: 1-line block ×4, first 2 shown]
	v_add_f64 v[8:9], v[36:37], v[8:9]
	v_add_f64 v[36:37], v[4:5], -v[36:37]
	v_add_f64 v[10:11], v[14:15], v[10:11]
	v_add_f64 v[14:15], v[6:7], -v[14:15]
	;; [unrolled: 2-line block ×3, first 2 shown]
	v_add_f64 v[28:29], v[28:29], -v[30:31]
	v_mul_f64 v[46:47], v[42:43], s[6:7]
	v_add_f64 v[18:19], v[12:13], v[18:19]
	v_add_f64 v[12:13], v[12:13], -v[32:33]
	v_mul_f64 v[44:45], v[38:39], s[6:7]
	v_add_f64 v[32:33], v[32:33], -v[34:35]
	v_mul_f64 v[22:23], v[22:23], s[14:15]
	v_mul_f64 v[26:27], v[26:27], s[10:11]
	;; [unrolled: 1-line block ×4, first 2 shown]
	v_add_f64 v[4:5], v[8:9], v[4:5]
	v_add_f64 v[6:7], v[10:11], v[6:7]
	;; [unrolled: 1-line block ×3, first 2 shown]
	v_mul_f64 v[30:31], v[20:21], s[4:5]
	v_add_f64 v[0:1], v[0:1], v[18:19]
	v_mul_f64 v[34:35], v[12:13], s[4:5]
	v_fma_f64 v[8:9], v[36:37], s[20:21], v[22:23]
	v_fma_f64 v[12:13], v[12:13], s[4:5], v[26:27]
	;; [unrolled: 1-line block ×3, first 2 shown]
	v_fma_f64 v[20:21], v[36:37], s[22:23], -v[44:45]
	v_fma_f64 v[22:23], v[38:39], s[6:7], -v[22:23]
	;; [unrolled: 1-line block ×5, first 2 shown]
	v_fma_f64 v[16:17], v[16:17], s[12:13], v[2:3]
	v_fma_f64 v[28:29], v[28:29], s[16:17], -v[30:31]
	v_fma_f64 v[30:31], v[14:15], s[20:21], v[40:41]
	v_fma_f64 v[14:15], v[14:15], s[22:23], -v[46:47]
	;; [unrolled: 2-line block ×3, first 2 shown]
	v_fma_f64 v[8:9], v[4:5], s[24:25], v[8:9]
	v_fma_f64 v[20:21], v[4:5], s[24:25], v[20:21]
	v_fma_f64 v[4:5], v[4:5], s[24:25], v[22:23]
	v_fma_f64 v[36:37], v[6:7], s[24:25], v[36:37]
	v_add_f64 v[34:35], v[10:11], v[16:17]
	v_add_f64 v[22:23], v[24:25], v[16:17]
	;; [unrolled: 1-line block ×3, first 2 shown]
	v_fma_f64 v[28:29], v[6:7], s[24:25], v[30:31]
	v_add_f64 v[38:39], v[12:13], v[18:19]
	v_fma_f64 v[30:31], v[6:7], s[24:25], v[14:15]
	v_add_f64 v[40:41], v[26:27], v[18:19]
	v_add_f64 v[12:13], v[32:33], v[18:19]
	v_add_f64 v[26:27], v[34:35], -v[8:9]
	v_add_f64 v[10:11], v[20:21], v[22:23]
	v_add_f64 v[22:23], v[22:23], -v[20:21]
	v_add_f64 v[14:15], v[16:17], -v[4:5]
	v_add_f64 v[24:25], v[28:29], v[38:39]
	v_add_f64 v[18:19], v[4:5], v[16:17]
	;; [unrolled: 1-line block ×3, first 2 shown]
	v_add_f64 v[16:17], v[12:13], -v[36:37]
	v_add_f64 v[12:13], v[36:37], v[12:13]
	v_add_f64 v[6:7], v[8:9], v[34:35]
	v_add_f64 v[8:9], v[40:41], -v[30:31]
	v_add_f64 v[4:5], v[38:39], -v[28:29]
	ds_write_b128 v60, v[0:3] offset:1792
	ds_write_b128 v60, v[24:27] offset:3840
	;; [unrolled: 1-line block ×7, first 2 shown]
.LBB0_21:
	s_or_b32 exec_lo, exec_lo, s1
	s_waitcnt lgkmcnt(0)
	s_barrier
	buffer_gl0_inv
	s_and_saveexec_b32 s0, vcc_lo
	s_cbranch_execz .LBB0_23
; %bb.22:
	v_lshl_add_u32 v28, v56, 4, 0
	v_mov_b32_e32 v57, 0
	v_add_co_u32 v30, vcc_lo, s2, v58
	v_add_co_ci_u32_e32 v31, vcc_lo, s3, v59, vcc_lo
	ds_read_b128 v[0:3], v28
	v_lshlrev_b64 v[17:18], 4, v[56:57]
	ds_read_b128 v[4:7], v28 offset:1792
	ds_read_b128 v[8:11], v28 offset:3584
	v_add_nc_u32_e32 v12, 0x70, v56
	v_mov_b32_e32 v13, v57
	v_add_nc_u32_e32 v14, 0xe0, v56
	v_mov_b32_e32 v15, v57
	v_add_co_u32 v17, vcc_lo, v30, v17
	v_lshlrev_b64 v[12:13], 4, v[12:13]
	v_add_co_ci_u32_e32 v18, vcc_lo, v31, v18, vcc_lo
	v_add_nc_u32_e32 v16, 0x150, v56
	v_lshlrev_b64 v[14:15], 4, v[14:15]
	v_mov_b32_e32 v19, v57
	v_add_co_u32 v12, vcc_lo, v30, v12
	v_add_co_ci_u32_e32 v13, vcc_lo, v31, v13, vcc_lo
	v_add_co_u32 v14, vcc_lo, v30, v14
	s_waitcnt lgkmcnt(2)
	global_store_dwordx4 v[17:18], v[0:3], off
	v_mov_b32_e32 v17, v57
	v_add_nc_u32_e32 v18, 0x1c0, v56
	s_waitcnt lgkmcnt(1)
	global_store_dwordx4 v[12:13], v[4:7], off
	v_add_co_ci_u32_e32 v15, vcc_lo, v31, v15, vcc_lo
	v_lshlrev_b64 v[16:17], 4, v[16:17]
	v_lshlrev_b64 v[4:5], 4, v[18:19]
	v_add_nc_u32_e32 v12, 0x230, v56
	v_mov_b32_e32 v13, v57
	s_waitcnt lgkmcnt(0)
	global_store_dwordx4 v[14:15], v[8:11], off
	ds_read_b128 v[0:3], v28 offset:5376
	v_add_co_u32 v20, vcc_lo, v30, v16
	v_add_co_ci_u32_e32 v21, vcc_lo, v31, v17, vcc_lo
	v_add_co_u32 v22, vcc_lo, v30, v4
	v_add_co_ci_u32_e32 v23, vcc_lo, v31, v5, vcc_lo
	ds_read_b128 v[4:7], v28 offset:7168
	ds_read_b128 v[8:11], v28 offset:8960
	v_lshlrev_b64 v[26:27], 4, v[12:13]
	ds_read_b128 v[12:15], v28 offset:10752
	ds_read_b128 v[16:19], v28 offset:12544
	v_add_nc_u32_e32 v24, 0x2a0, v56
	v_mov_b32_e32 v25, v57
	v_add_nc_u32_e32 v56, 0x310, v56
	v_add_co_u32 v26, vcc_lo, v30, v26
	v_lshlrev_b64 v[24:25], 4, v[24:25]
	v_lshlrev_b64 v[28:29], 4, v[56:57]
	v_add_co_ci_u32_e32 v27, vcc_lo, v31, v27, vcc_lo
	v_add_co_u32 v24, vcc_lo, v30, v24
	v_add_co_ci_u32_e32 v25, vcc_lo, v31, v25, vcc_lo
	v_add_co_u32 v28, vcc_lo, v30, v28
	v_add_co_ci_u32_e32 v29, vcc_lo, v31, v29, vcc_lo
	s_waitcnt lgkmcnt(4)
	global_store_dwordx4 v[20:21], v[0:3], off
	s_waitcnt lgkmcnt(3)
	global_store_dwordx4 v[22:23], v[4:7], off
	;; [unrolled: 2-line block ×5, first 2 shown]
.LBB0_23:
	s_endpgm
	.section	.rodata,"a",@progbits
	.p2align	6, 0x0
	.amdhsa_kernel fft_rtc_fwd_len896_factors_2_2_2_2_2_2_2_7_wgs_112_tpt_112_dp_ip_CI_unitstride_sbrr_C2R_dirReg
		.amdhsa_group_segment_fixed_size 0
		.amdhsa_private_segment_fixed_size 0
		.amdhsa_kernarg_size 88
		.amdhsa_user_sgpr_count 6
		.amdhsa_user_sgpr_private_segment_buffer 1
		.amdhsa_user_sgpr_dispatch_ptr 0
		.amdhsa_user_sgpr_queue_ptr 0
		.amdhsa_user_sgpr_kernarg_segment_ptr 1
		.amdhsa_user_sgpr_dispatch_id 0
		.amdhsa_user_sgpr_flat_scratch_init 0
		.amdhsa_user_sgpr_private_segment_size 0
		.amdhsa_wavefront_size32 1
		.amdhsa_uses_dynamic_stack 0
		.amdhsa_system_sgpr_private_segment_wavefront_offset 0
		.amdhsa_system_sgpr_workgroup_id_x 1
		.amdhsa_system_sgpr_workgroup_id_y 0
		.amdhsa_system_sgpr_workgroup_id_z 0
		.amdhsa_system_sgpr_workgroup_info 0
		.amdhsa_system_vgpr_workitem_id 0
		.amdhsa_next_free_vgpr 97
		.amdhsa_next_free_sgpr 26
		.amdhsa_reserve_vcc 1
		.amdhsa_reserve_flat_scratch 0
		.amdhsa_float_round_mode_32 0
		.amdhsa_float_round_mode_16_64 0
		.amdhsa_float_denorm_mode_32 3
		.amdhsa_float_denorm_mode_16_64 3
		.amdhsa_dx10_clamp 1
		.amdhsa_ieee_mode 1
		.amdhsa_fp16_overflow 0
		.amdhsa_workgroup_processor_mode 1
		.amdhsa_memory_ordered 1
		.amdhsa_forward_progress 0
		.amdhsa_shared_vgpr_count 0
		.amdhsa_exception_fp_ieee_invalid_op 0
		.amdhsa_exception_fp_denorm_src 0
		.amdhsa_exception_fp_ieee_div_zero 0
		.amdhsa_exception_fp_ieee_overflow 0
		.amdhsa_exception_fp_ieee_underflow 0
		.amdhsa_exception_fp_ieee_inexact 0
		.amdhsa_exception_int_div_zero 0
	.end_amdhsa_kernel
	.text
.Lfunc_end0:
	.size	fft_rtc_fwd_len896_factors_2_2_2_2_2_2_2_7_wgs_112_tpt_112_dp_ip_CI_unitstride_sbrr_C2R_dirReg, .Lfunc_end0-fft_rtc_fwd_len896_factors_2_2_2_2_2_2_2_7_wgs_112_tpt_112_dp_ip_CI_unitstride_sbrr_C2R_dirReg
                                        ; -- End function
	.section	.AMDGPU.csdata,"",@progbits
; Kernel info:
; codeLenInByte = 8896
; NumSgprs: 28
; NumVgprs: 97
; ScratchSize: 0
; MemoryBound: 0
; FloatMode: 240
; IeeeMode: 1
; LDSByteSize: 0 bytes/workgroup (compile time only)
; SGPRBlocks: 3
; VGPRBlocks: 12
; NumSGPRsForWavesPerEU: 28
; NumVGPRsForWavesPerEU: 97
; Occupancy: 9
; WaveLimiterHint : 1
; COMPUTE_PGM_RSRC2:SCRATCH_EN: 0
; COMPUTE_PGM_RSRC2:USER_SGPR: 6
; COMPUTE_PGM_RSRC2:TRAP_HANDLER: 0
; COMPUTE_PGM_RSRC2:TGID_X_EN: 1
; COMPUTE_PGM_RSRC2:TGID_Y_EN: 0
; COMPUTE_PGM_RSRC2:TGID_Z_EN: 0
; COMPUTE_PGM_RSRC2:TIDIG_COMP_CNT: 0
	.text
	.p2alignl 6, 3214868480
	.fill 48, 4, 3214868480
	.type	__hip_cuid_78ab913d2b0c735e,@object ; @__hip_cuid_78ab913d2b0c735e
	.section	.bss,"aw",@nobits
	.globl	__hip_cuid_78ab913d2b0c735e
__hip_cuid_78ab913d2b0c735e:
	.byte	0                               ; 0x0
	.size	__hip_cuid_78ab913d2b0c735e, 1

	.ident	"AMD clang version 19.0.0git (https://github.com/RadeonOpenCompute/llvm-project roc-6.4.0 25133 c7fe45cf4b819c5991fe208aaa96edf142730f1d)"
	.section	".note.GNU-stack","",@progbits
	.addrsig
	.addrsig_sym __hip_cuid_78ab913d2b0c735e
	.amdgpu_metadata
---
amdhsa.kernels:
  - .args:
      - .actual_access:  read_only
        .address_space:  global
        .offset:         0
        .size:           8
        .value_kind:     global_buffer
      - .offset:         8
        .size:           8
        .value_kind:     by_value
      - .actual_access:  read_only
        .address_space:  global
        .offset:         16
        .size:           8
        .value_kind:     global_buffer
      - .actual_access:  read_only
        .address_space:  global
        .offset:         24
        .size:           8
        .value_kind:     global_buffer
      - .offset:         32
        .size:           8
        .value_kind:     by_value
      - .actual_access:  read_only
        .address_space:  global
        .offset:         40
        .size:           8
        .value_kind:     global_buffer
      - .actual_access:  read_only
        .address_space:  global
        .offset:         48
        .size:           8
        .value_kind:     global_buffer
      - .offset:         56
        .size:           4
        .value_kind:     by_value
      - .actual_access:  read_only
        .address_space:  global
        .offset:         64
        .size:           8
        .value_kind:     global_buffer
      - .actual_access:  read_only
        .address_space:  global
        .offset:         72
        .size:           8
        .value_kind:     global_buffer
      - .address_space:  global
        .offset:         80
        .size:           8
        .value_kind:     global_buffer
    .group_segment_fixed_size: 0
    .kernarg_segment_align: 8
    .kernarg_segment_size: 88
    .language:       OpenCL C
    .language_version:
      - 2
      - 0
    .max_flat_workgroup_size: 112
    .name:           fft_rtc_fwd_len896_factors_2_2_2_2_2_2_2_7_wgs_112_tpt_112_dp_ip_CI_unitstride_sbrr_C2R_dirReg
    .private_segment_fixed_size: 0
    .sgpr_count:     28
    .sgpr_spill_count: 0
    .symbol:         fft_rtc_fwd_len896_factors_2_2_2_2_2_2_2_7_wgs_112_tpt_112_dp_ip_CI_unitstride_sbrr_C2R_dirReg.kd
    .uniform_work_group_size: 1
    .uses_dynamic_stack: false
    .vgpr_count:     97
    .vgpr_spill_count: 0
    .wavefront_size: 32
    .workgroup_processor_mode: 1
amdhsa.target:   amdgcn-amd-amdhsa--gfx1030
amdhsa.version:
  - 1
  - 2
...

	.end_amdgpu_metadata
